;; amdgpu-corpus repo=ROCm/rocFFT kind=compiled arch=gfx906 opt=O3
	.text
	.amdgcn_target "amdgcn-amd-amdhsa--gfx906"
	.amdhsa_code_object_version 6
	.protected	fft_rtc_back_len1848_factors_3_11_7_4_2_wgs_231_tpt_231_halfLds_dp_op_CI_CI_unitstride_sbrr_R2C_dirReg ; -- Begin function fft_rtc_back_len1848_factors_3_11_7_4_2_wgs_231_tpt_231_halfLds_dp_op_CI_CI_unitstride_sbrr_R2C_dirReg
	.globl	fft_rtc_back_len1848_factors_3_11_7_4_2_wgs_231_tpt_231_halfLds_dp_op_CI_CI_unitstride_sbrr_R2C_dirReg
	.p2align	8
	.type	fft_rtc_back_len1848_factors_3_11_7_4_2_wgs_231_tpt_231_halfLds_dp_op_CI_CI_unitstride_sbrr_R2C_dirReg,@function
fft_rtc_back_len1848_factors_3_11_7_4_2_wgs_231_tpt_231_halfLds_dp_op_CI_CI_unitstride_sbrr_R2C_dirReg: ; @fft_rtc_back_len1848_factors_3_11_7_4_2_wgs_231_tpt_231_halfLds_dp_op_CI_CI_unitstride_sbrr_R2C_dirReg
; %bb.0:
	s_load_dwordx4 s[8:11], s[4:5], 0x58
	s_load_dwordx4 s[12:15], s[4:5], 0x0
	;; [unrolled: 1-line block ×3, first 2 shown]
	v_mul_u32_u24_e32 v1, 0x11c, v0
	v_add_u32_sdwa v5, s6, v1 dst_sel:DWORD dst_unused:UNUSED_PAD src0_sel:DWORD src1_sel:WORD_1
	v_mov_b32_e32 v3, 0
	s_waitcnt lgkmcnt(0)
	v_cmp_lt_u64_e64 s[0:1], s[14:15], 2
	v_mov_b32_e32 v1, 0
	v_mov_b32_e32 v6, v3
	s_and_b64 vcc, exec, s[0:1]
	v_mov_b32_e32 v2, 0
	s_cbranch_vccnz .LBB0_8
; %bb.1:
	s_load_dwordx2 s[0:1], s[4:5], 0x10
	s_add_u32 s2, s18, 8
	s_addc_u32 s3, s19, 0
	s_add_u32 s6, s16, 8
	v_mov_b32_e32 v1, 0
	s_addc_u32 s7, s17, 0
	v_mov_b32_e32 v2, 0
	s_waitcnt lgkmcnt(0)
	s_add_u32 s20, s0, 8
	v_mov_b32_e32 v57, v2
	s_addc_u32 s21, s1, 0
	s_mov_b64 s[22:23], 1
	v_mov_b32_e32 v56, v1
.LBB0_2:                                ; =>This Inner Loop Header: Depth=1
	s_load_dwordx2 s[24:25], s[20:21], 0x0
                                        ; implicit-def: $vgpr58_vgpr59
	s_waitcnt lgkmcnt(0)
	v_or_b32_e32 v4, s25, v6
	v_cmp_ne_u64_e32 vcc, 0, v[3:4]
	s_and_saveexec_b64 s[0:1], vcc
	s_xor_b64 s[26:27], exec, s[0:1]
	s_cbranch_execz .LBB0_4
; %bb.3:                                ;   in Loop: Header=BB0_2 Depth=1
	v_cvt_f32_u32_e32 v4, s24
	v_cvt_f32_u32_e32 v7, s25
	s_sub_u32 s0, 0, s24
	s_subb_u32 s1, 0, s25
	v_mac_f32_e32 v4, 0x4f800000, v7
	v_rcp_f32_e32 v4, v4
	v_mul_f32_e32 v4, 0x5f7ffffc, v4
	v_mul_f32_e32 v7, 0x2f800000, v4
	v_trunc_f32_e32 v7, v7
	v_mac_f32_e32 v4, 0xcf800000, v7
	v_cvt_u32_f32_e32 v7, v7
	v_cvt_u32_f32_e32 v4, v4
	v_mul_lo_u32 v8, s0, v7
	v_mul_hi_u32 v9, s0, v4
	v_mul_lo_u32 v11, s1, v4
	v_mul_lo_u32 v10, s0, v4
	v_add_u32_e32 v8, v9, v8
	v_add_u32_e32 v8, v8, v11
	v_mul_hi_u32 v9, v4, v10
	v_mul_lo_u32 v11, v4, v8
	v_mul_hi_u32 v13, v4, v8
	v_mul_hi_u32 v12, v7, v10
	v_mul_lo_u32 v10, v7, v10
	v_mul_hi_u32 v14, v7, v8
	v_add_co_u32_e32 v9, vcc, v9, v11
	v_addc_co_u32_e32 v11, vcc, 0, v13, vcc
	v_mul_lo_u32 v8, v7, v8
	v_add_co_u32_e32 v9, vcc, v9, v10
	v_addc_co_u32_e32 v9, vcc, v11, v12, vcc
	v_addc_co_u32_e32 v10, vcc, 0, v14, vcc
	v_add_co_u32_e32 v8, vcc, v9, v8
	v_addc_co_u32_e32 v9, vcc, 0, v10, vcc
	v_add_co_u32_e32 v4, vcc, v4, v8
	v_addc_co_u32_e32 v7, vcc, v7, v9, vcc
	v_mul_lo_u32 v8, s0, v7
	v_mul_hi_u32 v9, s0, v4
	v_mul_lo_u32 v10, s1, v4
	v_mul_lo_u32 v11, s0, v4
	v_add_u32_e32 v8, v9, v8
	v_add_u32_e32 v8, v8, v10
	v_mul_lo_u32 v12, v4, v8
	v_mul_hi_u32 v13, v4, v11
	v_mul_hi_u32 v14, v4, v8
	v_mul_hi_u32 v10, v7, v11
	v_mul_lo_u32 v11, v7, v11
	v_mul_hi_u32 v9, v7, v8
	v_add_co_u32_e32 v12, vcc, v13, v12
	v_addc_co_u32_e32 v13, vcc, 0, v14, vcc
	v_mul_lo_u32 v8, v7, v8
	v_add_co_u32_e32 v11, vcc, v12, v11
	v_addc_co_u32_e32 v10, vcc, v13, v10, vcc
	v_addc_co_u32_e32 v9, vcc, 0, v9, vcc
	v_add_co_u32_e32 v8, vcc, v10, v8
	v_addc_co_u32_e32 v9, vcc, 0, v9, vcc
	v_add_co_u32_e32 v4, vcc, v4, v8
	v_addc_co_u32_e32 v9, vcc, v7, v9, vcc
	v_mad_u64_u32 v[7:8], s[0:1], v5, v9, 0
	v_mul_hi_u32 v10, v5, v4
	v_add_co_u32_e32 v11, vcc, v10, v7
	v_addc_co_u32_e32 v12, vcc, 0, v8, vcc
	v_mad_u64_u32 v[7:8], s[0:1], v6, v4, 0
	v_mad_u64_u32 v[9:10], s[0:1], v6, v9, 0
	v_add_co_u32_e32 v4, vcc, v11, v7
	v_addc_co_u32_e32 v4, vcc, v12, v8, vcc
	v_addc_co_u32_e32 v7, vcc, 0, v10, vcc
	v_add_co_u32_e32 v4, vcc, v4, v9
	v_addc_co_u32_e32 v9, vcc, 0, v7, vcc
	v_mul_lo_u32 v10, s25, v4
	v_mul_lo_u32 v11, s24, v9
	v_mad_u64_u32 v[7:8], s[0:1], s24, v4, 0
	v_add3_u32 v8, v8, v11, v10
	v_sub_u32_e32 v10, v6, v8
	v_mov_b32_e32 v11, s25
	v_sub_co_u32_e32 v7, vcc, v5, v7
	v_subb_co_u32_e64 v10, s[0:1], v10, v11, vcc
	v_subrev_co_u32_e64 v11, s[0:1], s24, v7
	v_subbrev_co_u32_e64 v10, s[0:1], 0, v10, s[0:1]
	v_cmp_le_u32_e64 s[0:1], s25, v10
	v_cndmask_b32_e64 v12, 0, -1, s[0:1]
	v_cmp_le_u32_e64 s[0:1], s24, v11
	v_cndmask_b32_e64 v11, 0, -1, s[0:1]
	v_cmp_eq_u32_e64 s[0:1], s25, v10
	v_cndmask_b32_e64 v10, v12, v11, s[0:1]
	v_add_co_u32_e64 v11, s[0:1], 2, v4
	v_addc_co_u32_e64 v12, s[0:1], 0, v9, s[0:1]
	v_add_co_u32_e64 v13, s[0:1], 1, v4
	v_addc_co_u32_e64 v14, s[0:1], 0, v9, s[0:1]
	v_subb_co_u32_e32 v8, vcc, v6, v8, vcc
	v_cmp_ne_u32_e64 s[0:1], 0, v10
	v_cmp_le_u32_e32 vcc, s25, v8
	v_cndmask_b32_e64 v10, v14, v12, s[0:1]
	v_cndmask_b32_e64 v12, 0, -1, vcc
	v_cmp_le_u32_e32 vcc, s24, v7
	v_cndmask_b32_e64 v7, 0, -1, vcc
	v_cmp_eq_u32_e32 vcc, s25, v8
	v_cndmask_b32_e32 v7, v12, v7, vcc
	v_cmp_ne_u32_e32 vcc, 0, v7
	v_cndmask_b32_e64 v7, v13, v11, s[0:1]
	v_cndmask_b32_e32 v59, v9, v10, vcc
	v_cndmask_b32_e32 v58, v4, v7, vcc
.LBB0_4:                                ;   in Loop: Header=BB0_2 Depth=1
	s_andn2_saveexec_b64 s[0:1], s[26:27]
	s_cbranch_execz .LBB0_6
; %bb.5:                                ;   in Loop: Header=BB0_2 Depth=1
	v_cvt_f32_u32_e32 v4, s24
	s_sub_i32 s26, 0, s24
	v_mov_b32_e32 v59, v3
	v_rcp_iflag_f32_e32 v4, v4
	v_mul_f32_e32 v4, 0x4f7ffffe, v4
	v_cvt_u32_f32_e32 v4, v4
	v_mul_lo_u32 v7, s26, v4
	v_mul_hi_u32 v7, v4, v7
	v_add_u32_e32 v4, v4, v7
	v_mul_hi_u32 v4, v5, v4
	v_mul_lo_u32 v7, v4, s24
	v_add_u32_e32 v8, 1, v4
	v_sub_u32_e32 v7, v5, v7
	v_subrev_u32_e32 v9, s24, v7
	v_cmp_le_u32_e32 vcc, s24, v7
	v_cndmask_b32_e32 v7, v7, v9, vcc
	v_cndmask_b32_e32 v4, v4, v8, vcc
	v_add_u32_e32 v8, 1, v4
	v_cmp_le_u32_e32 vcc, s24, v7
	v_cndmask_b32_e32 v58, v4, v8, vcc
.LBB0_6:                                ;   in Loop: Header=BB0_2 Depth=1
	s_or_b64 exec, exec, s[0:1]
	v_mul_lo_u32 v4, v59, s24
	v_mul_lo_u32 v9, v58, s25
	v_mad_u64_u32 v[7:8], s[0:1], v58, s24, 0
	s_load_dwordx2 s[0:1], s[6:7], 0x0
	s_load_dwordx2 s[24:25], s[2:3], 0x0
	v_add3_u32 v4, v8, v9, v4
	v_sub_co_u32_e32 v5, vcc, v5, v7
	v_subb_co_u32_e32 v4, vcc, v6, v4, vcc
	s_waitcnt lgkmcnt(0)
	v_mul_lo_u32 v6, s0, v4
	v_mul_lo_u32 v7, s1, v5
	v_mad_u64_u32 v[1:2], s[0:1], s0, v5, v[1:2]
	v_mul_lo_u32 v4, s24, v4
	v_mul_lo_u32 v8, s25, v5
	v_mad_u64_u32 v[56:57], s[0:1], s24, v5, v[56:57]
	s_add_u32 s22, s22, 1
	s_addc_u32 s23, s23, 0
	s_add_u32 s2, s2, 8
	v_add3_u32 v57, v8, v57, v4
	s_addc_u32 s3, s3, 0
	v_mov_b32_e32 v4, s14
	s_add_u32 s6, s6, 8
	v_mov_b32_e32 v5, s15
	s_addc_u32 s7, s7, 0
	v_cmp_ge_u64_e32 vcc, s[22:23], v[4:5]
	s_add_u32 s20, s20, 8
	v_add3_u32 v2, v7, v2, v6
	s_addc_u32 s21, s21, 0
	s_cbranch_vccnz .LBB0_9
; %bb.7:                                ;   in Loop: Header=BB0_2 Depth=1
	v_mov_b32_e32 v5, v58
	v_mov_b32_e32 v6, v59
	s_branch .LBB0_2
.LBB0_8:
	v_mov_b32_e32 v57, v2
	v_mov_b32_e32 v59, v6
	;; [unrolled: 1-line block ×4, first 2 shown]
.LBB0_9:
	s_load_dwordx2 s[4:5], s[4:5], 0x28
	s_lshl_b64 s[6:7], s[14:15], 3
	s_add_u32 s2, s18, s6
	s_addc_u32 s3, s19, s7
                                        ; implicit-def: $vgpr60
                                        ; implicit-def: $vgpr62
                                        ; implicit-def: $vgpr64
	s_waitcnt lgkmcnt(0)
	v_cmp_gt_u64_e64 s[0:1], s[4:5], v[58:59]
	v_cmp_le_u64_e32 vcc, s[4:5], v[58:59]
	s_and_saveexec_b64 s[4:5], vcc
	s_xor_b64 s[4:5], exec, s[4:5]
; %bb.10:
	s_mov_b32 s14, 0x11bb4a5
	v_mul_hi_u32 v1, v0, s14
	v_mul_u32_u24_e32 v1, 0xe7, v1
	v_sub_u32_e32 v60, v0, v1
	v_add_u32_e32 v62, 0xe7, v60
	v_add_u32_e32 v64, 0x1ce, v60
                                        ; implicit-def: $vgpr0
                                        ; implicit-def: $vgpr1_vgpr2
; %bb.11:
	s_andn2_saveexec_b64 s[4:5], s[4:5]
	s_cbranch_execz .LBB0_13
; %bb.12:
	s_add_u32 s6, s16, s6
	s_addc_u32 s7, s17, s7
	s_load_dwordx2 s[6:7], s[6:7], 0x0
	s_mov_b32 s14, 0x11bb4a5
	v_mul_hi_u32 v5, v0, s14
	s_waitcnt lgkmcnt(0)
	v_mul_lo_u32 v6, s7, v58
	v_mul_lo_u32 v7, s6, v59
	v_mad_u64_u32 v[3:4], s[6:7], s6, v58, 0
	v_mul_u32_u24_e32 v5, 0xe7, v5
	v_sub_u32_e32 v60, v0, v5
	v_add3_u32 v4, v4, v7, v6
	v_lshlrev_b64 v[3:4], 4, v[3:4]
	v_mov_b32_e32 v0, s9
	v_add_co_u32_e32 v3, vcc, s8, v3
	v_addc_co_u32_e32 v4, vcc, v0, v4, vcc
	v_lshlrev_b64 v[0:1], 4, v[1:2]
	v_lshlrev_b32_e32 v36, 4, v60
	v_add_co_u32_e32 v0, vcc, v3, v0
	v_addc_co_u32_e32 v1, vcc, v4, v1, vcc
	v_add_co_u32_e32 v24, vcc, v0, v36
	v_addc_co_u32_e32 v25, vcc, 0, v1, vcc
	s_movk_i32 s6, 0x1000
	v_add_co_u32_e32 v16, vcc, s6, v24
	v_addc_co_u32_e32 v17, vcc, 0, v25, vcc
	s_movk_i32 s6, 0x2000
	;; [unrolled: 3-line block ×4, first 2 shown]
	v_add_co_u32_e32 v28, vcc, s6, v24
	v_addc_co_u32_e32 v29, vcc, 0, v25, vcc
	v_add_co_u32_e32 v32, vcc, 0x5000, v24
	v_addc_co_u32_e32 v33, vcc, 0, v25, vcc
	v_add_co_u32_e32 v34, vcc, 0x6000, v24
	global_load_dwordx4 v[0:3], v[24:25], off
	global_load_dwordx4 v[4:7], v[24:25], off offset:3696
	global_load_dwordx4 v[8:11], v[16:17], off offset:3296
	;; [unrolled: 1-line block ×3, first 2 shown]
	s_nop 0
	global_load_dwordx4 v[16:19], v[26:27], off offset:2496
	global_load_dwordx4 v[20:23], v[28:29], off offset:2096
	v_addc_co_u32_e32 v35, vcc, 0, v25, vcc
	global_load_dwordx4 v[24:27], v[32:33], off offset:1696
	global_load_dwordx4 v[28:31], v[34:35], off offset:1296
	v_add_u32_e32 v62, 0xe7, v60
	v_add_u32_e32 v32, 0, v36
	v_add_u32_e32 v64, 0x1ce, v60
	s_waitcnt vmcnt(7)
	ds_write_b128 v32, v[0:3]
	s_waitcnt vmcnt(6)
	ds_write_b128 v32, v[4:7] offset:3696
	s_waitcnt vmcnt(5)
	ds_write_b128 v32, v[8:11] offset:7392
	;; [unrolled: 2-line block ×7, first 2 shown]
.LBB0_13:
	s_or_b64 exec, exec, s[4:5]
	v_lshl_add_u32 v189, v60, 4, 0
	s_load_dwordx2 s[2:3], s[2:3], 0x0
	s_waitcnt lgkmcnt(0)
	s_barrier
	ds_read_b128 v[4:7], v189 offset:9856
	ds_read_b128 v[8:11], v189
	ds_read_b128 v[12:15], v189 offset:3696
	ds_read_b128 v[20:23], v189 offset:7392
	;; [unrolled: 1-line block ×6, first 2 shown]
	s_mov_b32 s4, 0xe8584caa
	s_waitcnt lgkmcnt(6)
	v_add_f64 v[0:1], v[8:9], v[4:5]
	s_waitcnt lgkmcnt(3)
	v_add_f64 v[36:37], v[12:13], v[16:17]
	v_add_f64 v[2:3], v[10:11], v[6:7]
	;; [unrolled: 1-line block ×3, first 2 shown]
	s_waitcnt lgkmcnt(2)
	v_add_f64 v[40:41], v[4:5], v[24:25]
	v_add_f64 v[46:47], v[4:5], -v[24:25]
	s_waitcnt lgkmcnt(0)
	v_add_f64 v[48:49], v[22:23], v[34:35]
	v_add_f64 v[42:43], v[6:7], -v[26:27]
	v_add_f64 v[0:1], v[0:1], v[24:25]
	v_add_f64 v[4:5], v[36:37], v[28:29]
	;; [unrolled: 1-line block ×5, first 2 shown]
	ds_read_b128 v[24:27], v189 offset:27104
	v_add_f64 v[6:7], v[38:39], v[30:31]
	v_add_f64 v[38:39], v[16:17], v[28:29]
	v_add_f64 v[50:51], v[18:19], -v[30:31]
	v_add_f64 v[30:31], v[18:19], v[30:31]
	v_add_f64 v[28:29], v[16:17], -v[28:29]
	s_waitcnt lgkmcnt(0)
	v_add_f64 v[16:17], v[36:37], v[24:25]
	v_add_f64 v[18:19], v[48:49], v[26:27]
	;; [unrolled: 1-line block ×4, first 2 shown]
	v_add_f64 v[34:35], v[34:35], -v[26:27]
	v_add_f64 v[52:53], v[32:33], -v[24:25]
	v_fma_f64 v[24:25], v[40:41], -0.5, v[8:9]
	v_fma_f64 v[26:27], v[44:45], -0.5, v[10:11]
	;; [unrolled: 1-line block ×6, first 2 shown]
	s_mov_b32 s5, 0xbfebb67a
	s_mov_b32 s7, 0x3febb67a
	;; [unrolled: 1-line block ×3, first 2 shown]
	v_fma_f64 v[8:9], v[42:43], s[4:5], v[24:25]
	v_fma_f64 v[12:13], v[42:43], s[6:7], v[24:25]
	;; [unrolled: 1-line block ×12, first 2 shown]
	v_lshl_add_u32 v36, v60, 5, v189
	s_movk_i32 s4, 0x9a
	s_barrier
	ds_write_b128 v36, v[0:3]
	ds_write_b128 v36, v[8:11] offset:16
	ds_write_b128 v36, v[12:15] offset:32
	v_mad_i32_i24 v36, v62, 48, 0
	v_cmp_gt_u32_e32 vcc, s4, v60
	ds_write_b128 v36, v[4:7]
	ds_write_b128 v36, v[20:23] offset:16
	ds_write_b128 v36, v[24:27] offset:32
	s_and_saveexec_b64 s[4:5], vcc
	s_cbranch_execz .LBB0_15
; %bb.14:
	v_mad_i32_i24 v36, v64, 48, 0
	ds_write_b128 v36, v[16:19]
	ds_write_b128 v36, v[28:31] offset:16
	ds_write_b128 v36, v[32:35] offset:32
.LBB0_15:
	s_or_b64 exec, exec, s[4:5]
	s_movk_i32 s4, 0xa8
	v_cmp_gt_u32_e32 vcc, s4, v60
	s_waitcnt lgkmcnt(0)
	s_barrier
	s_waitcnt lgkmcnt(0)
                                        ; implicit-def: $vgpr42_vgpr43
                                        ; implicit-def: $vgpr38_vgpr39
	s_and_saveexec_b64 s[4:5], vcc
	s_cbranch_execz .LBB0_17
; %bb.16:
	ds_read_b128 v[0:3], v189
	ds_read_b128 v[8:11], v189 offset:2688
	ds_read_b128 v[12:15], v189 offset:5376
	;; [unrolled: 1-line block ×10, first 2 shown]
.LBB0_17:
	s_or_b64 exec, exec, s[4:5]
	s_movk_i32 s4, 0xab
	v_mul_lo_u16_sdwa v44, v60, s4 dst_sel:DWORD dst_unused:UNUSED_PAD src0_sel:BYTE_0 src1_sel:DWORD
	v_lshrrev_b16_e32 v61, 9, v44
	v_mul_lo_u16_e32 v44, 3, v61
	v_sub_u16_e32 v63, v60, v44
	v_mov_b32_e32 v44, 10
	v_mul_u32_u24_sdwa v44, v63, v44 dst_sel:DWORD dst_unused:UNUSED_PAD src0_sel:BYTE_0 src1_sel:DWORD
	v_lshlrev_b32_e32 v65, 4, v44
	global_load_dwordx4 v[44:47], v65, s[12:13]
	global_load_dwordx4 v[48:51], v65, s[12:13] offset:16
	global_load_dwordx4 v[52:55], v65, s[12:13] offset:32
	;; [unrolled: 1-line block ×9, first 2 shown]
	s_mov_b32 s4, 0x8764f0ba
	s_mov_b32 s5, 0x3feaeb8c
	;; [unrolled: 1-line block ×28, first 2 shown]
	s_waitcnt vmcnt(0) lgkmcnt(0)
	s_barrier
	v_mul_f64 v[65:66], v[10:11], v[46:47]
	v_mul_f64 v[46:47], v[8:9], v[46:47]
	;; [unrolled: 1-line block ×16, first 2 shown]
	v_fma_f64 v[91:92], v[10:11], v[44:45], -v[46:47]
	v_fma_f64 v[69:70], v[12:13], v[48:49], v[67:68]
	v_fma_f64 v[67:68], v[6:7], v[52:53], -v[54:55]
	v_fma_f64 v[54:55], v[22:23], v[73:74], -v[105:106]
	;; [unrolled: 1-line block ×3, first 2 shown]
	v_mul_f64 v[111:112], v[30:31], v[87:88]
	v_mul_f64 v[87:88], v[28:29], v[87:88]
	v_fma_f64 v[75:76], v[8:9], v[44:45], v[65:66]
	v_fma_f64 v[71:72], v[14:15], v[48:49], -v[50:51]
	v_fma_f64 v[65:66], v[4:5], v[52:53], v[101:102]
	v_fma_f64 v[52:53], v[20:21], v[73:74], v[103:104]
	v_fma_f64 v[50:51], v[26:27], v[77:78], -v[79:80]
	v_fma_f64 v[20:21], v[40:41], v[93:94], v[95:96]
	v_fma_f64 v[26:27], v[38:39], v[97:98], -v[99:100]
	v_add_f64 v[153:154], v[91:92], v[22:23]
	v_mul_f64 v[109:110], v[18:19], v[83:84]
	v_mul_f64 v[83:84], v[16:17], v[83:84]
	v_fma_f64 v[48:49], v[24:25], v[77:78], v[107:108]
	v_fma_f64 v[40:41], v[28:29], v[85:86], v[111:112]
	;; [unrolled: 1-line block ×3, first 2 shown]
	v_fma_f64 v[36:37], v[30:31], v[85:86], -v[87:88]
	v_fma_f64 v[28:29], v[32:33], v[89:90], v[113:114]
	v_fma_f64 v[30:31], v[34:35], v[89:90], -v[115:116]
	v_add_f64 v[163:164], v[91:92], -v[22:23]
	v_add_f64 v[183:184], v[75:76], -v[20:21]
	v_add_f64 v[151:152], v[71:72], v[26:27]
	v_mul_f64 v[89:90], v[153:154], s[4:5]
	v_fma_f64 v[46:47], v[18:19], v[81:82], -v[83:84]
	v_add_f64 v[139:140], v[75:76], v[20:21]
	v_add_f64 v[161:162], v[71:72], -v[26:27]
	v_add_f64 v[165:166], v[69:70], -v[24:25]
	v_add_f64 v[147:148], v[67:68], v[30:31]
	v_mul_f64 v[93:94], v[163:164], s[26:27]
	v_mul_f64 v[83:84], v[151:152], s[6:7]
	;; [unrolled: 1-line block ×3, first 2 shown]
	v_fma_f64 v[6:7], v[183:184], s[8:9], v[89:90]
	v_add_f64 v[141:142], v[69:70], v[24:25]
	v_add_f64 v[159:160], v[67:68], -v[30:31]
	v_add_f64 v[155:156], v[65:66], -v[28:29]
	v_add_f64 v[121:122], v[54:55], v[36:37]
	v_mul_f64 v[77:78], v[147:148], s[14:15]
	v_mul_f64 v[95:96], v[161:162], s[18:19]
	;; [unrolled: 1-line block ×3, first 2 shown]
	v_fma_f64 v[10:11], v[165:166], s[26:27], v[83:84]
	v_fma_f64 v[12:13], v[139:140], s[6:7], -v[93:94]
	v_fma_f64 v[14:15], v[183:184], s[26:27], v[111:112]
	v_add_f64 v[6:7], v[2:3], v[6:7]
	v_add_f64 v[123:124], v[65:66], v[28:29]
	v_add_f64 v[157:158], v[54:55], -v[36:37]
	v_add_f64 v[149:150], v[52:53], -v[40:41]
	v_mul_f64 v[42:43], v[121:122], s[20:21]
	v_mul_f64 v[87:88], v[159:160], s[30:31]
	;; [unrolled: 1-line block ×3, first 2 shown]
	v_fma_f64 v[18:19], v[155:156], s[16:17], v[77:78]
	v_fma_f64 v[103:104], v[141:142], s[20:21], -v[95:96]
	v_fma_f64 v[105:106], v[165:166], s[18:19], v[101:102]
	v_add_f64 v[12:13], v[0:1], v[12:13]
	v_add_f64 v[14:15], v[2:3], v[14:15]
	;; [unrolled: 1-line block ×3, first 2 shown]
	v_fma_f64 v[44:45], v[16:17], v[81:82], v[109:110]
	v_add_f64 v[117:118], v[52:53], v[40:41]
	v_mul_f64 v[81:82], v[163:164], s[8:9]
	v_mul_f64 v[85:86], v[157:158], s[34:35]
	v_fma_f64 v[10:11], v[149:150], s[18:19], v[42:43]
	v_fma_f64 v[109:110], v[123:124], s[22:23], -v[87:88]
	v_fma_f64 v[115:116], v[155:156], s[30:31], v[99:100]
	v_add_f64 v[12:13], v[103:104], v[12:13]
	v_add_f64 v[14:15], v[105:106], v[14:15]
	;; [unrolled: 1-line block ×3, first 2 shown]
	v_mul_f64 v[107:108], v[163:164], s[16:17]
	v_mul_f64 v[143:144], v[153:154], s[14:15]
	;; [unrolled: 1-line block ×3, first 2 shown]
	v_fma_f64 v[4:5], v[139:140], s[4:5], -v[81:82]
	v_fma_f64 v[125:126], v[117:118], s[14:15], -v[85:86]
	v_add_f64 v[12:13], v[109:110], v[12:13]
	v_add_f64 v[14:15], v[115:116], v[14:15]
	;; [unrolled: 1-line block ×3, first 2 shown]
	v_fma_f64 v[10:11], v[139:140], s[14:15], -v[107:108]
	v_mul_f64 v[109:110], v[161:162], s[30:31]
	v_fma_f64 v[115:116], v[183:184], s[16:17], v[143:144]
	v_mul_f64 v[145:146], v[151:152], s[22:23]
	v_mul_f64 v[169:170], v[163:164], s[18:19]
	;; [unrolled: 1-line block ×4, first 2 shown]
	v_fma_f64 v[8:9], v[141:142], s[6:7], -v[79:80]
	v_add_f64 v[4:5], v[0:1], v[4:5]
	v_add_f64 v[12:13], v[125:126], v[12:13]
	;; [unrolled: 1-line block ×3, first 2 shown]
	v_fma_f64 v[125:126], v[141:142], s[22:23], -v[109:110]
	v_add_f64 v[133:134], v[2:3], v[115:116]
	v_fma_f64 v[135:136], v[165:166], s[30:31], v[145:146]
	v_mul_f64 v[131:132], v[147:148], s[6:7]
	v_fma_f64 v[137:138], v[139:140], s[20:21], -v[169:170]
	v_mul_f64 v[173:174], v[161:162], s[34:35]
	v_fma_f64 v[167:168], v[183:184], s[18:19], v[187:188]
	v_mul_f64 v[179:180], v[151:152], s[14:15]
	v_mul_f64 v[38:39], v[157:158], s[18:19]
	v_fma_f64 v[16:17], v[123:124], s[14:15], -v[73:74]
	v_add_f64 v[4:5], v[8:9], v[4:5]
	v_mul_f64 v[115:116], v[159:160], s[38:39]
	v_add_f64 v[10:11], v[125:126], v[10:11]
	v_add_f64 v[125:126], v[135:136], v[133:134]
	v_fma_f64 v[135:136], v[155:156], s[38:39], v[131:132]
	v_add_f64 v[137:138], v[0:1], v[137:138]
	v_fma_f64 v[171:172], v[141:142], s[14:15], -v[173:174]
	v_add_f64 v[175:176], v[2:3], v[167:168]
	v_fma_f64 v[181:182], v[165:166], s[34:35], v[179:180]
	v_mul_f64 v[167:168], v[159:160], s[8:9]
	v_mul_f64 v[177:178], v[147:148], s[4:5]
	v_add_f64 v[129:130], v[50:51], -v[46:47]
	v_add_f64 v[119:120], v[50:51], v[46:47]
	v_mul_f64 v[97:98], v[121:122], s[14:15]
	v_fma_f64 v[8:9], v[117:118], s[20:21], -v[38:39]
	v_add_f64 v[4:5], v[16:17], v[4:5]
	v_fma_f64 v[133:134], v[123:124], s[6:7], -v[115:116]
	v_add_f64 v[192:193], v[135:136], v[125:126]
	v_mul_f64 v[125:126], v[157:158], s[8:9]
	v_mul_f64 v[135:136], v[121:122], s[4:5]
	v_add_f64 v[171:172], v[171:172], v[137:138]
	v_add_f64 v[185:186], v[181:182], v[175:176]
	v_fma_f64 v[194:195], v[123:124], s[4:5], -v[167:168]
	v_fma_f64 v[196:197], v[155:156], s[8:9], v[177:178]
	v_mul_f64 v[175:176], v[157:158], s[24:25]
	v_mul_f64 v[181:182], v[121:122], s[22:23]
	v_add_f64 v[113:114], v[48:49], v[44:45]
	v_add_f64 v[127:128], v[48:49], -v[44:45]
	v_mul_f64 v[32:33], v[129:130], s[24:25]
	v_mul_f64 v[34:35], v[119:120], s[22:23]
	v_add_f64 v[4:5], v[8:9], v[4:5]
	v_fma_f64 v[8:9], v[149:150], s[34:35], v[97:98]
	v_mul_f64 v[103:104], v[129:130], s[36:37]
	v_mul_f64 v[105:106], v[119:120], s[4:5]
	v_add_f64 v[10:11], v[133:134], v[10:11]
	v_fma_f64 v[198:199], v[117:118], s[4:5], -v[125:126]
	v_fma_f64 v[200:201], v[149:150], s[8:9], v[135:136]
	v_mul_f64 v[133:134], v[129:130], s[18:19]
	v_mul_f64 v[137:138], v[119:120], s[20:21]
	v_add_f64 v[194:195], v[194:195], v[171:172]
	v_add_f64 v[196:197], v[196:197], v[185:186]
	v_fma_f64 v[202:203], v[117:118], s[22:23], -v[175:176]
	v_fma_f64 v[204:205], v[149:150], s[24:25], v[181:182]
	v_mul_f64 v[171:172], v[129:130], s[38:39]
	v_mul_f64 v[185:186], v[119:120], s[6:7]
	v_fma_f64 v[16:17], v[113:114], s[22:23], -v[32:33]
	v_fma_f64 v[18:19], v[127:128], s[24:25], v[34:35]
	v_add_f64 v[8:9], v[8:9], v[14:15]
	v_fma_f64 v[14:15], v[113:114], s[4:5], -v[103:104]
	v_fma_f64 v[190:191], v[127:128], s[36:37], v[105:106]
	v_add_f64 v[10:11], v[198:199], v[10:11]
	v_add_f64 v[192:193], v[200:201], v[192:193]
	v_fma_f64 v[198:199], v[113:114], s[20:21], -v[133:134]
	v_fma_f64 v[200:201], v[127:128], s[18:19], v[137:138]
	v_add_f64 v[194:195], v[202:203], v[194:195]
	;; [unrolled: 4-line block ×3, first 2 shown]
	v_add_f64 v[18:19], v[18:19], v[6:7]
	v_add_f64 v[12:13], v[14:15], v[12:13]
	;; [unrolled: 1-line block ×7, first 2 shown]
	s_and_saveexec_b64 s[28:29], vcc
	s_cbranch_execz .LBB0_19
; %bb.18:
	v_mul_f64 v[192:193], v[183:184], s[8:9]
	v_mul_f64 v[196:197], v[183:184], s[26:27]
	;; [unrolled: 1-line block ×12, first 2 shown]
	v_fma_f64 v[224:225], v[153:154], s[22:23], v[183:184]
	v_fma_f64 v[228:229], v[139:140], s[22:23], -v[163:164]
	v_mul_f64 v[234:235], v[155:156], s[18:19]
	v_mul_f64 v[159:160], v[159:160], s[18:19]
	;; [unrolled: 1-line block ×4, first 2 shown]
	v_fma_f64 v[236:237], v[151:152], s[4:5], v[165:166]
	v_fma_f64 v[238:239], v[141:142], s[4:5], -v[161:162]
	v_add_f64 v[224:225], v[2:3], v[224:225]
	v_add_f64 v[228:229], v[0:1], v[228:229]
	v_mul_f64 v[198:199], v[139:140], s[14:15]
	v_mul_f64 v[202:203], v[139:140], s[20:21]
	v_fma_f64 v[246:247], v[147:148], s[20:21], v[234:235]
	v_mul_f64 v[157:158], v[157:158], s[38:39]
	v_fma_f64 v[139:140], v[139:140], s[22:23], v[163:164]
	v_add_f64 v[187:188], v[187:188], -v[204:205]
	v_add_f64 v[224:225], v[236:237], v[224:225]
	v_fma_f64 v[236:237], v[123:124], s[20:21], -v[159:160]
	v_add_f64 v[228:229], v[238:239], v[228:229]
	v_add_f64 v[91:92], v[2:3], v[91:92]
	;; [unrolled: 1-line block ×3, first 2 shown]
	v_mul_f64 v[206:207], v[141:142], s[6:7]
	v_mul_f64 v[210:211], v[141:142], s[20:21]
	;; [unrolled: 1-line block ×9, first 2 shown]
	v_add_f64 v[224:225], v[246:247], v[224:225]
	v_fma_f64 v[246:247], v[117:118], s[6:7], -v[157:158]
	v_add_f64 v[228:229], v[236:237], v[228:229]
	v_fma_f64 v[141:142], v[141:142], s[4:5], v[161:162]
	v_add_f64 v[139:140], v[0:1], v[139:140]
	v_add_f64 v[179:180], v[179:180], -v[220:221]
	v_add_f64 v[187:188], v[2:3], v[187:188]
	v_fma_f64 v[153:154], v[153:154], s[22:23], -v[183:184]
	v_add_f64 v[71:72], v[91:92], v[71:72]
	v_add_f64 v[69:70], v[75:76], v[69:70]
	v_fma_f64 v[183:184], v[121:122], s[6:7], v[244:245]
	v_mul_f64 v[236:237], v[149:150], s[18:19]
	v_fma_f64 v[151:152], v[151:152], s[4:5], -v[165:166]
	v_mul_f64 v[165:166], v[149:150], s[34:35]
	v_add_f64 v[228:229], v[246:247], v[228:229]
	v_mul_f64 v[246:247], v[149:150], s[8:9]
	v_mul_f64 v[149:150], v[149:150], s[24:25]
	;; [unrolled: 1-line block ×3, first 2 shown]
	v_fma_f64 v[159:160], v[123:124], s[20:21], v[159:160]
	v_add_f64 v[139:140], v[141:142], v[139:140]
	v_add_f64 v[155:156], v[177:178], -v[155:156]
	v_add_f64 v[177:178], v[179:180], v[187:188]
	v_add_f64 v[153:154], v[2:3], v[153:154]
	;; [unrolled: 1-line block ×5, first 2 shown]
	v_mul_f64 v[222:223], v[123:124], s[14:15]
	v_mul_f64 v[230:231], v[123:124], s[22:23]
	;; [unrolled: 1-line block ×6, first 2 shown]
	v_add_f64 v[183:184], v[183:184], v[224:225]
	v_mul_f64 v[224:225], v[117:118], s[4:5]
	v_fma_f64 v[147:148], v[147:148], s[20:21], -v[234:235]
	v_mul_f64 v[234:235], v[117:118], s[22:23]
	v_mul_f64 v[163:164], v[127:128], s[24:25]
	;; [unrolled: 1-line block ×3, first 2 shown]
	v_fma_f64 v[123:124], v[119:120], s[14:15], v[161:162]
	v_add_f64 v[173:174], v[218:219], v[173:174]
	v_mul_f64 v[218:219], v[127:128], s[18:19]
	v_mul_f64 v[129:130], v[129:130], s[16:17]
	;; [unrolled: 1-line block ×3, first 2 shown]
	v_fma_f64 v[117:118], v[117:118], s[6:7], v[157:158]
	v_add_f64 v[139:140], v[159:160], v[139:140]
	v_add_f64 v[149:150], v[181:182], -v[149:150]
	v_add_f64 v[155:156], v[155:156], v[177:178]
	v_add_f64 v[151:152], v[151:152], v[153:154]
	;; [unrolled: 1-line block ×5, first 2 shown]
	v_mul_f64 v[153:154], v[113:114], s[22:23]
	v_mul_f64 v[204:205], v[113:114], s[4:5]
	;; [unrolled: 1-line block ×4, first 2 shown]
	v_add_f64 v[123:124], v[123:124], v[183:184]
	v_fma_f64 v[183:184], v[113:114], s[14:15], -v[129:130]
	v_fma_f64 v[113:114], v[113:114], s[14:15], v[129:130]
	v_add_f64 v[117:118], v[117:118], v[139:140]
	v_add_f64 v[127:128], v[185:186], -v[127:128]
	v_add_f64 v[139:140], v[143:144], -v[200:201]
	v_add_f64 v[143:144], v[149:150], v[155:156]
	v_add_f64 v[147:148], v[147:148], v[151:152]
	;; [unrolled: 1-line block ×7, first 2 shown]
	v_add_f64 v[89:90], v[89:90], -v[192:193]
	v_add_f64 v[113:114], v[127:128], v[143:144]
	v_add_f64 v[127:128], v[111:112], -v[196:197]
	v_add_f64 v[52:53], v[190:191], v[81:82]
	v_add_f64 v[107:108], v[198:199], v[107:108]
	;; [unrolled: 1-line block ×9, first 2 shown]
	v_add_f64 v[83:84], v[83:84], -v[208:209]
	v_add_f64 v[2:3], v[2:3], v[89:90]
	v_add_f64 v[79:80], v[206:207], v[79:80]
	;; [unrolled: 1-line block ×3, first 2 shown]
	v_add_f64 v[101:102], v[101:102], -v[212:213]
	v_add_f64 v[107:108], v[0:1], v[107:108]
	v_add_f64 v[81:82], v[210:211], v[95:96]
	;; [unrolled: 1-line block ×5, first 2 shown]
	v_add_f64 v[145:146], v[145:146], -v[216:217]
	v_add_f64 v[91:92], v[214:215], v[109:110]
	v_add_f64 v[36:37], v[46:47], v[36:37]
	v_add_f64 v[40:41], v[44:45], v[40:41]
	v_add_f64 v[52:53], v[77:78], -v[226:227]
	v_add_f64 v[2:3], v[83:84], v[2:3]
	v_add_f64 v[54:55], v[222:223], v[73:74]
	v_add_f64 v[44:45], v[79:80], v[48:49]
	v_add_f64 v[99:100], v[99:100], -v[232:233]
	v_add_f64 v[101:102], v[101:102], v[127:128]
	v_add_f64 v[50:51], v[230:231], v[87:88]
	v_add_f64 v[0:1], v[81:82], v[0:1]
	v_add_f64 v[111:112], v[141:142], v[129:130]
	v_add_f64 v[129:130], v[131:132], -v[242:243]
	v_add_f64 v[131:132], v[145:146], v[139:140]
	v_add_f64 v[71:72], v[240:241], v[115:116]
	;; [unrolled: 1-line block ×5, first 2 shown]
	v_add_f64 v[42:43], v[42:43], -v[236:237]
	v_add_f64 v[2:3], v[52:53], v[2:3]
	v_add_f64 v[38:39], v[248:249], v[38:39]
	v_add_f64 v[36:37], v[54:55], v[44:45]
	v_add_f64 v[97:98], v[97:98], -v[165:166]
	v_add_f64 v[99:100], v[99:100], v[101:102]
	v_add_f64 v[46:47], v[250:251], v[85:86]
	v_add_f64 v[0:1], v[50:51], v[0:1]
	v_add_f64 v[75:76], v[135:136], -v[246:247]
	v_add_f64 v[109:110], v[129:130], v[131:132]
	v_add_f64 v[67:68], v[224:225], v[125:126]
	v_add_f64 v[71:72], v[71:72], v[91:92]
	v_fma_f64 v[121:122], v[121:122], s[6:7], -v[244:245]
	v_add_f64 v[26:27], v[30:31], v[26:27]
	v_add_f64 v[30:31], v[28:29], v[24:25]
	v_add_f64 v[34:35], v[34:35], -v[163:164]
	v_add_f64 v[42:43], v[42:43], v[2:3]
	v_add_f64 v[44:45], v[153:154], v[32:33]
	v_add_f64 v[36:37], v[38:39], v[36:37]
	v_add_f64 v[91:92], v[105:106], -v[202:203]
	v_add_f64 v[97:98], v[97:98], v[99:100]
	;; [unrolled: 4-line block ×3, first 2 shown]
	v_add_f64 v[65:66], v[220:221], v[133:134]
	v_add_f64 v[38:39], v[67:68], v[71:72]
	v_fma_f64 v[119:120], v[119:120], s[14:15], -v[161:162]
	v_add_f64 v[147:148], v[121:122], v[147:148]
	v_add_f64 v[32:33], v[26:27], v[22:23]
	;; [unrolled: 1-line block ×10, first 2 shown]
	v_mov_b32_e32 v21, 4
	v_add_f64 v[121:122], v[183:184], v[228:229]
	v_mul_u32_u24_e32 v20, 0x210, v61
	v_lshlrev_b32_sdwa v21, v21, v63 dst_sel:DWORD dst_unused:UNUSED_PAD src0_sel:DWORD src1_sel:BYTE_0
	v_add3_u32 v20, 0, v20, v21
	ds_write_b128 v20, v[30:33]
	ds_write_b128 v20, v[26:29] offset:48
	ds_write_b128 v20, v[22:25] offset:96
	;; [unrolled: 1-line block ×10, first 2 shown]
.LBB0_19:
	s_or_b64 exec, exec, s[28:29]
	s_waitcnt lgkmcnt(0)
	s_barrier
	ds_read_b128 v[28:31], v189
	ds_read_b128 v[48:51], v189 offset:4224
	ds_read_b128 v[44:47], v189 offset:8448
	;; [unrolled: 1-line block ×6, first 2 shown]
	v_cmp_gt_u32_e32 vcc, 33, v60
	v_lshl_add_u32 v66, v62, 4, 0
                                        ; implicit-def: $vgpr26_vgpr27
                                        ; implicit-def: $vgpr22_vgpr23
                                        ; implicit-def: $vgpr2_vgpr3
	s_and_saveexec_b64 s[4:5], vcc
	s_cbranch_execz .LBB0_21
; %bb.20:
	ds_read_b128 v[4:7], v66
	ds_read_b128 v[8:11], v189 offset:7920
	ds_read_b128 v[12:15], v189 offset:12144
	;; [unrolled: 1-line block ×6, first 2 shown]
.LBB0_21:
	s_or_b64 exec, exec, s[4:5]
	s_movk_i32 s4, 0xf9
	v_mul_lo_u16_sdwa v61, v60, s4 dst_sel:DWORD dst_unused:UNUSED_PAD src0_sel:BYTE_0 src1_sel:DWORD
	v_lshrrev_b16_e32 v61, 13, v61
	v_mul_lo_u16_e32 v63, 33, v61
	v_sub_u16_e32 v63, v60, v63
	v_mov_b32_e32 v65, 6
	v_mul_u32_u24_sdwa v65, v63, v65 dst_sel:DWORD dst_unused:UNUSED_PAD src0_sel:BYTE_0 src1_sel:DWORD
	v_lshlrev_b32_e32 v65, 4, v65
	global_load_dwordx4 v[67:70], v65, s[12:13] offset:480
	global_load_dwordx4 v[71:74], v65, s[12:13] offset:496
	;; [unrolled: 1-line block ×6, first 2 shown]
	s_mov_b32 s8, 0x37e14327
	s_mov_b32 s14, 0x36b3c0b5
	;; [unrolled: 1-line block ×20, first 2 shown]
	v_mov_b32_e32 v65, 4
	v_mul_u32_u24_e32 v61, 0xe70, v61
	v_lshlrev_b32_sdwa v63, v65, v63 dst_sel:DWORD dst_unused:UNUSED_PAD src0_sel:DWORD src1_sel:BYTE_0
	v_add3_u32 v61, 0, v61, v63
	s_waitcnt vmcnt(0) lgkmcnt(0)
	s_barrier
	v_mul_f64 v[91:92], v[50:51], v[69:70]
	v_mul_f64 v[69:70], v[48:49], v[69:70]
	;; [unrolled: 1-line block ×12, first 2 shown]
	v_fma_f64 v[48:49], v[48:49], v[67:68], v[91:92]
	v_fma_f64 v[50:51], v[50:51], v[67:68], -v[69:70]
	v_fma_f64 v[44:45], v[44:45], v[71:72], v[93:94]
	v_fma_f64 v[46:47], v[46:47], v[71:72], -v[73:74]
	;; [unrolled: 2-line block ×6, first 2 shown]
	v_add_f64 v[67:68], v[48:49], v[52:53]
	v_add_f64 v[69:70], v[50:51], v[54:55]
	v_add_f64 v[48:49], v[48:49], -v[52:53]
	v_add_f64 v[50:51], v[50:51], -v[54:55]
	v_add_f64 v[52:53], v[44:45], v[40:41]
	v_add_f64 v[54:55], v[46:47], v[42:43]
	v_add_f64 v[40:41], v[44:45], -v[40:41]
	v_add_f64 v[42:43], v[46:47], -v[42:43]
	;; [unrolled: 4-line block ×4, first 2 shown]
	v_add_f64 v[67:68], v[67:68], -v[44:45]
	v_add_f64 v[69:70], v[69:70], -v[46:47]
	;; [unrolled: 1-line block ×4, first 2 shown]
	v_add_f64 v[75:76], v[32:33], v[40:41]
	v_add_f64 v[77:78], v[34:35], v[42:43]
	v_add_f64 v[79:80], v[32:33], -v[40:41]
	v_add_f64 v[81:82], v[34:35], -v[42:43]
	v_add_f64 v[36:37], v[44:45], v[36:37]
	v_add_f64 v[38:39], v[46:47], v[38:39]
	v_add_f64 v[40:41], v[40:41], -v[48:49]
	v_add_f64 v[42:43], v[42:43], -v[50:51]
	;; [unrolled: 1-line block ×4, first 2 shown]
	v_add_f64 v[44:45], v[75:76], v[48:49]
	v_add_f64 v[46:47], v[77:78], v[50:51]
	v_mul_f64 v[48:49], v[67:68], s[8:9]
	v_mul_f64 v[50:51], v[69:70], s[8:9]
	;; [unrolled: 1-line block ×6, first 2 shown]
	v_add_f64 v[28:29], v[28:29], v[36:37]
	v_add_f64 v[30:31], v[30:31], v[38:39]
	v_mul_f64 v[79:80], v[40:41], s[4:5]
	v_mul_f64 v[81:82], v[42:43], s[4:5]
	v_fma_f64 v[52:53], v[52:53], s[14:15], v[48:49]
	v_fma_f64 v[54:55], v[54:55], s[14:15], v[50:51]
	v_fma_f64 v[67:68], v[71:72], s[16:17], -v[67:68]
	v_fma_f64 v[69:70], v[73:74], s[16:17], -v[69:70]
	;; [unrolled: 1-line block ×4, first 2 shown]
	v_fma_f64 v[71:72], v[32:33], s[24:25], v[75:76]
	v_fma_f64 v[73:74], v[34:35], s[24:25], v[77:78]
	;; [unrolled: 1-line block ×4, first 2 shown]
	v_fma_f64 v[32:33], v[32:33], s[26:27], -v[79:80]
	v_fma_f64 v[34:35], v[34:35], s[26:27], -v[81:82]
	;; [unrolled: 1-line block ×4, first 2 shown]
	v_fma_f64 v[71:72], v[44:45], s[20:21], v[71:72]
	v_fma_f64 v[73:74], v[46:47], s[20:21], v[73:74]
	v_add_f64 v[52:53], v[52:53], v[36:37]
	v_add_f64 v[54:55], v[54:55], v[38:39]
	v_fma_f64 v[79:80], v[44:45], s[20:21], v[32:33]
	v_fma_f64 v[81:82], v[46:47], s[20:21], v[34:35]
	v_add_f64 v[48:49], v[48:49], v[36:37]
	v_add_f64 v[50:51], v[50:51], v[38:39]
	;; [unrolled: 4-line block ×3, first 2 shown]
	v_add_f64 v[32:33], v[73:74], v[52:53]
	v_add_f64 v[34:35], v[54:55], -v[71:72]
	v_add_f64 v[36:37], v[81:82], v[48:49]
	v_add_f64 v[38:39], v[50:51], -v[79:80]
	v_add_f64 v[48:49], v[48:49], -v[81:82]
	v_add_f64 v[50:51], v[79:80], v[50:51]
	v_add_f64 v[40:41], v[44:45], -v[77:78]
	v_add_f64 v[42:43], v[75:76], v[46:47]
	v_add_f64 v[44:45], v[77:78], v[44:45]
	v_add_f64 v[46:47], v[46:47], -v[75:76]
	v_add_f64 v[52:53], v[52:53], -v[73:74]
	v_add_f64 v[54:55], v[71:72], v[54:55]
	ds_write_b128 v61, v[28:31]
	ds_write_b128 v61, v[32:35] offset:528
	ds_write_b128 v61, v[36:39] offset:1056
	;; [unrolled: 1-line block ×6, first 2 shown]
	s_and_saveexec_b64 s[28:29], vcc
	s_cbranch_execz .LBB0_23
; %bb.22:
	s_mov_b32 s30, 0xf83f
	v_mul_u32_u24_sdwa v28, v62, s30 dst_sel:DWORD dst_unused:UNUSED_PAD src0_sel:WORD_0 src1_sel:DWORD
	v_lshrrev_b32_e32 v28, 21, v28
	v_mul_lo_u16_e32 v28, 33, v28
	v_sub_u16_e32 v61, v62, v28
	v_mul_u32_u24_e32 v28, 6, v61
	v_lshlrev_b32_e32 v52, 4, v28
	global_load_dwordx4 v[28:31], v52, s[12:13] offset:528
	global_load_dwordx4 v[32:35], v52, s[12:13] offset:512
	;; [unrolled: 1-line block ×6, first 2 shown]
	s_waitcnt vmcnt(5)
	v_mul_f64 v[52:53], v[2:3], v[30:31]
	s_waitcnt vmcnt(4)
	v_mul_f64 v[54:55], v[18:19], v[34:35]
	;; [unrolled: 2-line block ×6, first 2 shown]
	v_mul_f64 v[38:39], v[12:13], v[38:39]
	v_mul_f64 v[42:43], v[20:21], v[42:43]
	;; [unrolled: 1-line block ×6, first 2 shown]
	v_fma_f64 v[12:13], v[12:13], v[36:37], v[67:68]
	v_fma_f64 v[20:21], v[20:21], v[40:41], v[69:70]
	;; [unrolled: 1-line block ×4, first 2 shown]
	v_fma_f64 v[14:15], v[14:15], v[36:37], -v[38:39]
	v_fma_f64 v[22:23], v[22:23], v[40:41], -v[42:43]
	;; [unrolled: 1-line block ×4, first 2 shown]
	v_fma_f64 v[0:1], v[0:1], v[28:29], v[52:53]
	v_fma_f64 v[16:17], v[16:17], v[32:33], v[54:55]
	v_fma_f64 v[18:19], v[18:19], v[32:33], -v[34:35]
	v_fma_f64 v[2:3], v[2:3], v[28:29], -v[30:31]
	v_add_f64 v[30:31], v[12:13], -v[20:21]
	v_add_f64 v[32:33], v[8:9], -v[24:25]
	v_add_f64 v[36:37], v[14:15], v[22:23]
	v_add_f64 v[38:39], v[10:11], v[26:27]
	;; [unrolled: 1-line block ×4, first 2 shown]
	v_add_f64 v[28:29], v[0:1], -v[16:17]
	v_add_f64 v[34:35], v[18:19], v[2:3]
	v_add_f64 v[0:1], v[16:17], v[0:1]
	v_add_f64 v[2:3], v[2:3], -v[18:19]
	v_add_f64 v[14:15], v[14:15], -v[22:23]
	;; [unrolled: 1-line block ×3, first 2 shown]
	v_add_f64 v[26:27], v[36:37], v[38:39]
	v_add_f64 v[42:43], v[12:13], v[8:9]
	;; [unrolled: 1-line block ×3, first 2 shown]
	v_add_f64 v[18:19], v[28:29], -v[30:31]
	v_add_f64 v[20:21], v[32:33], -v[28:29]
	;; [unrolled: 1-line block ×8, first 2 shown]
	v_add_f64 v[26:27], v[34:35], v[26:27]
	v_add_f64 v[38:39], v[0:1], v[42:43]
	;; [unrolled: 1-line block ×3, first 2 shown]
	v_add_f64 v[30:31], v[30:31], -v[32:33]
	v_add_f64 v[8:9], v[12:13], -v[8:9]
	;; [unrolled: 1-line block ×4, first 2 shown]
	v_add_f64 v[14:15], v[16:17], v[32:33]
	v_mul_f64 v[16:17], v[18:19], s[18:19]
	v_mul_f64 v[24:25], v[24:25], s[8:9]
	;; [unrolled: 1-line block ×5, first 2 shown]
	v_add_f64 v[2:3], v[6:7], v[26:27]
	v_add_f64 v[0:1], v[4:5], v[38:39]
	;; [unrolled: 1-line block ×3, first 2 shown]
	v_mul_f64 v[42:43], v[30:31], s[4:5]
	v_mul_f64 v[44:45], v[12:13], s[4:5]
	;; [unrolled: 1-line block ×3, first 2 shown]
	v_fma_f64 v[46:47], v[20:21], s[24:25], v[16:17]
	v_fma_f64 v[22:23], v[22:23], s[14:15], v[24:25]
	v_fma_f64 v[6:7], v[28:29], s[14:15], v[34:35]
	v_fma_f64 v[4:5], v[48:49], s[24:25], v[40:41]
	v_fma_f64 v[28:29], v[8:9], s[22:23], -v[34:35]
	v_fma_f64 v[26:27], v[26:27], s[6:7], v[2:3]
	v_fma_f64 v[8:9], v[8:9], s[16:17], -v[32:33]
	v_fma_f64 v[32:33], v[38:39], s[6:7], v[0:1]
	v_fma_f64 v[20:21], v[20:21], s[26:27], -v[42:43]
	v_fma_f64 v[24:25], v[36:37], s[22:23], -v[24:25]
	v_fma_f64 v[34:35], v[48:49], s[26:27], -v[44:45]
	v_fma_f64 v[18:19], v[36:37], s[16:17], -v[18:19]
	v_fma_f64 v[16:17], v[30:31], s[4:5], -v[16:17]
	v_fma_f64 v[12:13], v[12:13], s[4:5], -v[40:41]
	v_fma_f64 v[30:31], v[14:15], s[20:21], v[46:47]
	v_fma_f64 v[4:5], v[10:11], s[20:21], v[4:5]
	v_add_f64 v[36:37], v[22:23], v[26:27]
	v_add_f64 v[38:39], v[6:7], v[32:33]
	v_fma_f64 v[20:21], v[14:15], s[20:21], v[20:21]
	v_add_f64 v[22:23], v[24:25], v[26:27]
	v_fma_f64 v[34:35], v[10:11], s[20:21], v[34:35]
	;; [unrolled: 2-line block ×4, first 2 shown]
	v_add_f64 v[8:9], v[8:9], v[32:33]
	v_add_f64 v[26:27], v[36:37], -v[30:31]
	v_add_f64 v[24:25], v[4:5], v[38:39]
	v_add_f64 v[10:11], v[20:21], v[22:23]
	v_add_f64 v[22:23], v[22:23], -v[20:21]
	v_add_f64 v[20:21], v[34:35], v[28:29]
	v_add_f64 v[14:15], v[18:19], -v[16:17]
	;; [unrolled: 2-line block ×5, first 2 shown]
	v_lshl_add_u32 v28, v61, 4, 0
	ds_write_b128 v28, v[0:3] offset:25872
	ds_write_b128 v28, v[24:27] offset:26400
	;; [unrolled: 1-line block ×7, first 2 shown]
.LBB0_23:
	s_or_b64 exec, exec, s[28:29]
	v_mul_u32_u24_e32 v0, 3, v60
	v_lshlrev_b32_e32 v0, 4, v0
	s_waitcnt lgkmcnt(0)
	s_barrier
	global_load_dwordx4 v[4:7], v0, s[12:13] offset:3648
	global_load_dwordx4 v[12:15], v0, s[12:13] offset:3664
	;; [unrolled: 1-line block ×3, first 2 shown]
	v_mov_b32_e32 v61, 0
	v_lshlrev_b64 v[2:3], 4, v[60:61]
	v_mov_b32_e32 v53, s13
	v_mov_b32_e32 v65, v61
	v_add_co_u32_e32 v55, vcc, s12, v2
	s_movk_i32 s4, 0x3000
	v_mov_b32_e32 v63, v61
	v_lshlrev_b64 v[8:9], 4, v[64:65]
	v_addc_co_u32_e32 v65, vcc, v53, v3, vcc
	v_lshlrev_b64 v[10:11], 4, v[62:63]
	v_add_co_u32_e32 v0, vcc, s4, v55
	v_addc_co_u32_e32 v1, vcc, 0, v65, vcc
	v_add_co_u32_e32 v54, vcc, s12, v10
	v_lshl_add_u32 v16, v64, 4, 0
	v_addc_co_u32_e32 v61, vcc, v53, v11, vcc
	ds_read_b128 v[21:24], v66
	ds_read_b128 v[25:28], v189
	ds_read_b128 v[29:32], v189 offset:11088
	ds_read_b128 v[33:36], v189 offset:14784
	;; [unrolled: 1-line block ×5, first 2 shown]
	ds_read_b128 v[49:52], v16
	v_add_co_u32_e32 v62, vcc, s12, v8
	v_addc_co_u32_e32 v63, vcc, v53, v9, vcc
	v_add_co_u32_e32 v53, vcc, s4, v54
	v_addc_co_u32_e32 v54, vcc, 0, v61, vcc
	;; [unrolled: 2-line block ×3, first 2 shown]
	s_movk_i32 s5, 0x6000
	s_waitcnt vmcnt(0) lgkmcnt(0)
	s_barrier
	s_add_u32 s6, s12, 0x7350
	s_addc_u32 s7, s13, 0
	v_mul_f64 v[63:64], v[51:52], v[6:7]
	v_mul_f64 v[67:68], v[49:50], v[6:7]
	;; [unrolled: 1-line block ×12, first 2 shown]
	v_fma_f64 v[49:50], v[49:50], v[4:5], v[63:64]
	v_fma_f64 v[51:52], v[51:52], v[4:5], -v[67:68]
	v_fma_f64 v[33:34], v[33:34], v[12:13], v[69:70]
	v_fma_f64 v[35:36], v[35:36], v[12:13], -v[71:72]
	;; [unrolled: 2-line block ×6, first 2 shown]
	v_add_f64 v[31:32], v[25:26], -v[33:34]
	v_add_f64 v[33:34], v[27:28], -v[35:36]
	;; [unrolled: 1-line block ×8, first 2 shown]
	v_fma_f64 v[41:42], v[25:26], 2.0, -v[31:32]
	v_fma_f64 v[43:44], v[27:28], 2.0, -v[33:34]
	v_fma_f64 v[17:18], v[49:50], 2.0, -v[19:20]
	v_fma_f64 v[25:26], v[51:52], 2.0, -v[35:36]
	v_fma_f64 v[45:46], v[21:22], 2.0, -v[37:38]
	v_fma_f64 v[47:48], v[23:24], 2.0, -v[39:40]
	v_fma_f64 v[21:22], v[29:30], 2.0, -v[14:15]
	v_fma_f64 v[23:24], v[4:5], 2.0, -v[12:13]
	v_add_f64 v[4:5], v[31:32], v[35:36]
	v_add_f64 v[6:7], v[33:34], -v[19:20]
	v_add_f64 v[12:13], v[37:38], v[12:13]
	v_add_f64 v[14:15], v[39:40], -v[14:15]
	v_add_f64 v[17:18], v[41:42], -v[17:18]
	v_add_f64 v[19:20], v[43:44], -v[25:26]
	v_add_f64 v[21:22], v[45:46], -v[21:22]
	v_add_f64 v[23:24], v[47:48], -v[23:24]
	v_fma_f64 v[25:26], v[31:32], 2.0, -v[4:5]
	v_fma_f64 v[27:28], v[33:34], 2.0, -v[6:7]
	;; [unrolled: 1-line block ×8, first 2 shown]
	ds_write_b128 v189, v[4:7] offset:11088
	ds_write_b128 v189, v[12:15] offset:25872
	;; [unrolled: 1-line block ×6, first 2 shown]
	ds_write_b128 v189, v[33:36]
	ds_write_b128 v189, v[37:40] offset:14784
	s_waitcnt lgkmcnt(0)
	s_barrier
	global_load_dwordx4 v[4:7], v[0:1], off offset:2448
	global_load_dwordx4 v[12:15], v[53:54], off offset:2448
	;; [unrolled: 1-line block ×3, first 2 shown]
	v_add_co_u32_e32 v0, vcc, s5, v55
	v_addc_co_u32_e32 v1, vcc, 0, v65, vcc
	global_load_dwordx4 v[21:24], v[0:1], off offset:1248
	ds_read_b128 v[25:28], v66
	ds_read_b128 v[29:32], v189 offset:14784
	ds_read_b128 v[33:36], v189 offset:18480
	ds_read_b128 v[37:40], v16
	ds_read_b128 v[41:44], v189
	ds_read_b128 v[45:48], v189 offset:11088
	ds_read_b128 v[49:52], v189 offset:22176
	ds_read_b128 v[61:64], v189 offset:25872
	s_waitcnt vmcnt(0) lgkmcnt(0)
	s_barrier
	v_cmp_ne_u32_e32 vcc, 0, v60
	v_mul_f64 v[0:1], v[31:32], v[6:7]
	v_mul_f64 v[6:7], v[29:30], v[6:7]
	;; [unrolled: 1-line block ×8, first 2 shown]
	v_fma_f64 v[0:1], v[29:30], v[4:5], v[0:1]
	v_fma_f64 v[6:7], v[31:32], v[4:5], -v[6:7]
	v_fma_f64 v[29:30], v[33:34], v[12:13], v[53:54]
	v_fma_f64 v[14:15], v[35:36], v[12:13], -v[14:15]
	;; [unrolled: 2-line block ×4, first 2 shown]
	v_add_f64 v[4:5], v[41:42], -v[0:1]
	v_add_f64 v[6:7], v[43:44], -v[6:7]
	;; [unrolled: 1-line block ×8, first 2 shown]
	v_fma_f64 v[29:30], v[41:42], 2.0, -v[4:5]
	v_fma_f64 v[31:32], v[43:44], 2.0, -v[6:7]
	;; [unrolled: 1-line block ×8, first 2 shown]
	ds_write_b128 v189, v[4:7] offset:14784
	ds_write_b128 v189, v[29:32]
	ds_write_b128 v66, v[25:28]
	ds_write_b128 v66, v[12:15] offset:14784
	ds_write_b128 v16, v[33:36]
	ds_write_b128 v16, v[17:20] offset:14784
	ds_write_b128 v189, v[37:40] offset:11088
	;; [unrolled: 1-line block ×3, first 2 shown]
	s_waitcnt lgkmcnt(0)
	s_barrier
	ds_read_b128 v[4:7], v189
	v_lshlrev_b32_e32 v0, 4, v60
	v_sub_u32_e32 v17, 0, v0
                                        ; implicit-def: $vgpr0_vgpr1
                                        ; implicit-def: $vgpr12_vgpr13
                                        ; implicit-def: $vgpr14_vgpr15
	s_and_saveexec_b64 s[4:5], vcc
	s_xor_b64 s[4:5], exec, s[4:5]
	s_cbranch_execz .LBB0_25
; %bb.24:
	v_mov_b32_e32 v1, s7
	v_add_co_u32_e32 v0, vcc, s6, v2
	v_addc_co_u32_e32 v1, vcc, v1, v3, vcc
	global_load_dwordx4 v[18:21], v[0:1], off
	ds_read_b128 v[0:3], v17 offset:29568
	s_waitcnt lgkmcnt(0)
	v_add_f64 v[12:13], v[4:5], -v[0:1]
	v_add_f64 v[14:15], v[6:7], v[2:3]
	v_add_f64 v[2:3], v[6:7], -v[2:3]
	v_add_f64 v[0:1], v[4:5], v[0:1]
	v_mul_f64 v[6:7], v[12:13], 0.5
	v_mul_f64 v[4:5], v[14:15], 0.5
	;; [unrolled: 1-line block ×3, first 2 shown]
	s_waitcnt vmcnt(0)
	v_mul_f64 v[12:13], v[6:7], v[20:21]
	v_fma_f64 v[14:15], v[4:5], v[20:21], v[2:3]
	v_fma_f64 v[2:3], v[4:5], v[20:21], -v[2:3]
	v_fma_f64 v[22:23], v[0:1], 0.5, v[12:13]
	v_fma_f64 v[0:1], v[0:1], 0.5, -v[12:13]
	v_fma_f64 v[14:15], -v[18:19], v[6:7], v[14:15]
	v_fma_f64 v[2:3], -v[18:19], v[6:7], v[2:3]
	v_fma_f64 v[12:13], v[4:5], v[18:19], v[22:23]
	v_fma_f64 v[0:1], -v[4:5], v[18:19], v[0:1]
                                        ; implicit-def: $vgpr4_vgpr5
.LBB0_25:
	s_andn2_saveexec_b64 s[4:5], s[4:5]
	s_cbranch_execz .LBB0_27
; %bb.26:
	s_waitcnt lgkmcnt(0)
	v_add_f64 v[12:13], v[4:5], v[6:7]
	v_add_f64 v[0:1], v[4:5], -v[6:7]
	v_mov_b32_e32 v4, 0
	ds_read_b64 v[2:3], v4 offset:14792
	v_mov_b32_e32 v14, 0
	v_mov_b32_e32 v15, 0
	s_waitcnt lgkmcnt(0)
	v_xor_b32_e32 v3, 0x80000000, v3
	ds_write_b64 v4, v[2:3] offset:14792
	v_mov_b32_e32 v2, v14
	v_mov_b32_e32 v3, v15
.LBB0_27:
	s_or_b64 exec, exec, s[4:5]
	s_waitcnt lgkmcnt(0)
	v_mov_b32_e32 v5, s7
	v_add_co_u32_e32 v4, vcc, s6, v10
	v_addc_co_u32_e32 v5, vcc, v5, v11, vcc
	global_load_dwordx4 v[4:7], v[4:5], off
	v_mov_b32_e32 v10, s7
	v_add_co_u32_e32 v8, vcc, s6, v8
	v_addc_co_u32_e32 v9, vcc, v10, v9, vcc
	global_load_dwordx4 v[8:11], v[8:9], off
	ds_write2_b64 v189, v[12:13], v[14:15] offset1:1
	ds_write_b128 v17, v[0:3] offset:29568
	ds_read_b128 v[0:3], v66
	ds_read_b128 v[12:15], v17 offset:25872
	v_mov_b32_e32 v30, s7
	s_waitcnt lgkmcnt(0)
	v_add_f64 v[18:19], v[0:1], -v[12:13]
	v_add_f64 v[20:21], v[2:3], v[14:15]
	v_add_f64 v[2:3], v[2:3], -v[14:15]
	v_add_f64 v[12:13], v[0:1], v[12:13]
	v_add_u32_e32 v0, 0x2b5, v60
	v_mov_b32_e32 v1, 0
	v_lshlrev_b64 v[22:23], 4, v[0:1]
	v_add_u32_e32 v0, 0x2800, v189
	v_mul_f64 v[18:19], v[18:19], 0.5
	v_mul_f64 v[20:21], v[20:21], 0.5
	v_mul_f64 v[2:3], v[2:3], 0.5
	s_waitcnt vmcnt(1)
	v_mul_f64 v[14:15], v[18:19], v[6:7]
	v_fma_f64 v[24:25], v[20:21], v[6:7], v[2:3]
	v_fma_f64 v[2:3], v[20:21], v[6:7], -v[2:3]
	v_add_co_u32_e32 v6, vcc, s6, v22
	v_addc_co_u32_e32 v7, vcc, v30, v23, vcc
	v_fma_f64 v[26:27], v[12:13], 0.5, v[14:15]
	v_fma_f64 v[28:29], v[12:13], 0.5, -v[14:15]
	global_load_dwordx4 v[12:15], v[6:7], off
	v_fma_f64 v[22:23], -v[4:5], v[18:19], v[24:25]
	v_fma_f64 v[6:7], -v[4:5], v[18:19], v[2:3]
	v_fma_f64 v[2:3], v[20:21], v[4:5], v[26:27]
	v_fma_f64 v[4:5], -v[20:21], v[4:5], v[28:29]
	ds_write2_b64 v66, v[2:3], v[22:23] offset1:1
	ds_write_b128 v17, v[4:7] offset:25872
	ds_read_b128 v[2:5], v16
	ds_read_b128 v[18:21], v17 offset:22176
	s_waitcnt lgkmcnt(0)
	v_add_f64 v[6:7], v[2:3], -v[18:19]
	v_add_f64 v[22:23], v[4:5], v[20:21]
	v_add_f64 v[4:5], v[4:5], -v[20:21]
	v_add_f64 v[2:3], v[2:3], v[18:19]
	v_mul_f64 v[6:7], v[6:7], 0.5
	v_mul_f64 v[20:21], v[22:23], 0.5
	;; [unrolled: 1-line block ×3, first 2 shown]
	s_waitcnt vmcnt(1)
	v_mul_f64 v[18:19], v[6:7], v[10:11]
	v_fma_f64 v[22:23], v[20:21], v[10:11], v[4:5]
	v_fma_f64 v[4:5], v[20:21], v[10:11], -v[4:5]
	v_fma_f64 v[10:11], v[2:3], 0.5, v[18:19]
	v_fma_f64 v[2:3], v[2:3], 0.5, -v[18:19]
	v_fma_f64 v[18:19], -v[8:9], v[6:7], v[22:23]
	v_fma_f64 v[4:5], -v[8:9], v[6:7], v[4:5]
	v_fma_f64 v[6:7], v[20:21], v[8:9], v[10:11]
	v_fma_f64 v[2:3], -v[20:21], v[8:9], v[2:3]
	ds_write2_b64 v16, v[6:7], v[18:19] offset1:1
	ds_write_b128 v17, v[2:5] offset:22176
	ds_read_b128 v[2:5], v189 offset:11088
	ds_read_b128 v[6:9], v17 offset:18480
	s_waitcnt lgkmcnt(0)
	v_add_f64 v[10:11], v[2:3], -v[6:7]
	v_add_f64 v[18:19], v[4:5], v[8:9]
	v_add_f64 v[4:5], v[4:5], -v[8:9]
	v_add_f64 v[2:3], v[2:3], v[6:7]
	v_mul_f64 v[8:9], v[10:11], 0.5
	v_mul_f64 v[10:11], v[18:19], 0.5
	;; [unrolled: 1-line block ×3, first 2 shown]
	s_waitcnt vmcnt(0)
	v_mul_f64 v[6:7], v[8:9], v[14:15]
	v_fma_f64 v[18:19], v[10:11], v[14:15], v[4:5]
	v_fma_f64 v[4:5], v[10:11], v[14:15], -v[4:5]
	v_fma_f64 v[14:15], v[2:3], 0.5, v[6:7]
	v_fma_f64 v[2:3], v[2:3], 0.5, -v[6:7]
	v_fma_f64 v[6:7], -v[12:13], v[8:9], v[18:19]
	v_fma_f64 v[4:5], -v[12:13], v[8:9], v[4:5]
	v_fma_f64 v[8:9], v[10:11], v[12:13], v[14:15]
	v_fma_f64 v[2:3], -v[10:11], v[12:13], v[2:3]
	ds_write2_b64 v0, v[8:9], v[6:7] offset0:106 offset1:107
	ds_write_b128 v17, v[2:5] offset:18480
	s_waitcnt lgkmcnt(0)
	s_barrier
	s_and_saveexec_b64 s[4:5], s[0:1]
	s_cbranch_execz .LBB0_30
; %bb.28:
	v_mul_lo_u32 v0, s3, v58
	v_mul_lo_u32 v4, s2, v59
	v_mad_u64_u32 v[2:3], s[0:1], s2, v58, 0
	v_lshlrev_b64 v[8:9], 4, v[56:57]
	v_lshl_add_u32 v14, v60, 4, 0
	v_add3_u32 v3, v3, v4, v0
	v_lshlrev_b64 v[2:3], 4, v[2:3]
	v_mov_b32_e32 v0, s11
	v_add_co_u32_e32 v2, vcc, s10, v2
	v_addc_co_u32_e32 v0, vcc, v0, v3, vcc
	v_mov_b32_e32 v61, v1
	ds_read_b128 v[4:7], v14
	v_add_co_u32_e32 v3, vcc, v2, v8
	v_addc_co_u32_e32 v2, vcc, v0, v9, vcc
	v_lshlrev_b64 v[8:9], 4, v[60:61]
	v_add_u32_e32 v0, 0xe7, v60
	v_add_co_u32_e32 v12, vcc, v3, v8
	v_addc_co_u32_e32 v13, vcc, v2, v9, vcc
	ds_read_b128 v[8:11], v14 offset:3696
	s_waitcnt lgkmcnt(1)
	global_store_dwordx4 v[12:13], v[4:7], off
	s_movk_i32 s0, 0xe6
	v_lshlrev_b64 v[4:5], 4, v[0:1]
	v_add_u32_e32 v0, 0x1ce, v60
	v_add_co_u32_e32 v4, vcc, v3, v4
	v_addc_co_u32_e32 v5, vcc, v2, v5, vcc
	s_waitcnt lgkmcnt(0)
	global_store_dwordx4 v[4:5], v[8:11], off
	ds_read_b128 v[4:7], v14 offset:7392
	v_lshlrev_b64 v[8:9], 4, v[0:1]
	v_add_u32_e32 v0, 0x2b5, v60
	v_add_co_u32_e32 v12, vcc, v3, v8
	v_addc_co_u32_e32 v13, vcc, v2, v9, vcc
	ds_read_b128 v[8:11], v14 offset:11088
	s_waitcnt lgkmcnt(1)
	global_store_dwordx4 v[12:13], v[4:7], off
	s_nop 0
	v_lshlrev_b64 v[4:5], 4, v[0:1]
	v_add_u32_e32 v0, 0x39c, v60
	v_add_co_u32_e32 v4, vcc, v3, v4
	v_addc_co_u32_e32 v5, vcc, v2, v5, vcc
	s_waitcnt lgkmcnt(0)
	global_store_dwordx4 v[4:5], v[8:11], off
	ds_read_b128 v[4:7], v14 offset:14784
	v_lshlrev_b64 v[8:9], 4, v[0:1]
	v_add_u32_e32 v0, 0x483, v60
	v_add_co_u32_e32 v12, vcc, v3, v8
	v_addc_co_u32_e32 v13, vcc, v2, v9, vcc
	ds_read_b128 v[8:11], v14 offset:18480
	s_waitcnt lgkmcnt(1)
	global_store_dwordx4 v[12:13], v[4:7], off
	s_nop 0
	v_lshlrev_b64 v[4:5], 4, v[0:1]
	v_add_u32_e32 v0, 0x56a, v60
	v_add_co_u32_e32 v4, vcc, v3, v4
	v_addc_co_u32_e32 v5, vcc, v2, v5, vcc
	s_waitcnt lgkmcnt(0)
	global_store_dwordx4 v[4:5], v[8:11], off
	ds_read_b128 v[4:7], v14 offset:22176
	v_lshlrev_b64 v[8:9], 4, v[0:1]
	v_add_u32_e32 v0, 0x651, v60
	v_add_co_u32_e32 v12, vcc, v3, v8
	v_addc_co_u32_e32 v13, vcc, v2, v9, vcc
	ds_read_b128 v[8:11], v14 offset:25872
	v_lshlrev_b64 v[0:1], 4, v[0:1]
	s_waitcnt lgkmcnt(1)
	global_store_dwordx4 v[12:13], v[4:7], off
	v_add_co_u32_e32 v0, vcc, v3, v0
	v_addc_co_u32_e32 v1, vcc, v2, v1, vcc
	v_cmp_eq_u32_e32 vcc, s0, v60
	s_waitcnt lgkmcnt(0)
	global_store_dwordx4 v[0:1], v[8:11], off
	s_and_b64 exec, exec, vcc
	s_cbranch_execz .LBB0_30
; %bb.29:
	v_mov_b32_e32 v0, 0
	ds_read_b128 v[4:7], v0 offset:29568
	v_add_co_u32_e32 v0, vcc, 0x7000, v3
	v_addc_co_u32_e32 v1, vcc, 0, v2, vcc
	s_waitcnt lgkmcnt(0)
	global_store_dwordx4 v[0:1], v[4:7], off offset:896
.LBB0_30:
	s_endpgm
	.section	.rodata,"a",@progbits
	.p2align	6, 0x0
	.amdhsa_kernel fft_rtc_back_len1848_factors_3_11_7_4_2_wgs_231_tpt_231_halfLds_dp_op_CI_CI_unitstride_sbrr_R2C_dirReg
		.amdhsa_group_segment_fixed_size 0
		.amdhsa_private_segment_fixed_size 0
		.amdhsa_kernarg_size 104
		.amdhsa_user_sgpr_count 6
		.amdhsa_user_sgpr_private_segment_buffer 1
		.amdhsa_user_sgpr_dispatch_ptr 0
		.amdhsa_user_sgpr_queue_ptr 0
		.amdhsa_user_sgpr_kernarg_segment_ptr 1
		.amdhsa_user_sgpr_dispatch_id 0
		.amdhsa_user_sgpr_flat_scratch_init 0
		.amdhsa_user_sgpr_private_segment_size 0
		.amdhsa_uses_dynamic_stack 0
		.amdhsa_system_sgpr_private_segment_wavefront_offset 0
		.amdhsa_system_sgpr_workgroup_id_x 1
		.amdhsa_system_sgpr_workgroup_id_y 0
		.amdhsa_system_sgpr_workgroup_id_z 0
		.amdhsa_system_sgpr_workgroup_info 0
		.amdhsa_system_vgpr_workitem_id 0
		.amdhsa_next_free_vgpr 252
		.amdhsa_next_free_sgpr 40
		.amdhsa_reserve_vcc 1
		.amdhsa_reserve_flat_scratch 0
		.amdhsa_float_round_mode_32 0
		.amdhsa_float_round_mode_16_64 0
		.amdhsa_float_denorm_mode_32 3
		.amdhsa_float_denorm_mode_16_64 3
		.amdhsa_dx10_clamp 1
		.amdhsa_ieee_mode 1
		.amdhsa_fp16_overflow 0
		.amdhsa_exception_fp_ieee_invalid_op 0
		.amdhsa_exception_fp_denorm_src 0
		.amdhsa_exception_fp_ieee_div_zero 0
		.amdhsa_exception_fp_ieee_overflow 0
		.amdhsa_exception_fp_ieee_underflow 0
		.amdhsa_exception_fp_ieee_inexact 0
		.amdhsa_exception_int_div_zero 0
	.end_amdhsa_kernel
	.text
.Lfunc_end0:
	.size	fft_rtc_back_len1848_factors_3_11_7_4_2_wgs_231_tpt_231_halfLds_dp_op_CI_CI_unitstride_sbrr_R2C_dirReg, .Lfunc_end0-fft_rtc_back_len1848_factors_3_11_7_4_2_wgs_231_tpt_231_halfLds_dp_op_CI_CI_unitstride_sbrr_R2C_dirReg
                                        ; -- End function
	.section	.AMDGPU.csdata,"",@progbits
; Kernel info:
; codeLenInByte = 10616
; NumSgprs: 44
; NumVgprs: 252
; ScratchSize: 0
; MemoryBound: 0
; FloatMode: 240
; IeeeMode: 1
; LDSByteSize: 0 bytes/workgroup (compile time only)
; SGPRBlocks: 5
; VGPRBlocks: 62
; NumSGPRsForWavesPerEU: 44
; NumVGPRsForWavesPerEU: 252
; Occupancy: 1
; WaveLimiterHint : 1
; COMPUTE_PGM_RSRC2:SCRATCH_EN: 0
; COMPUTE_PGM_RSRC2:USER_SGPR: 6
; COMPUTE_PGM_RSRC2:TRAP_HANDLER: 0
; COMPUTE_PGM_RSRC2:TGID_X_EN: 1
; COMPUTE_PGM_RSRC2:TGID_Y_EN: 0
; COMPUTE_PGM_RSRC2:TGID_Z_EN: 0
; COMPUTE_PGM_RSRC2:TIDIG_COMP_CNT: 0
	.type	__hip_cuid_5841f4049d3ce313,@object ; @__hip_cuid_5841f4049d3ce313
	.section	.bss,"aw",@nobits
	.globl	__hip_cuid_5841f4049d3ce313
__hip_cuid_5841f4049d3ce313:
	.byte	0                               ; 0x0
	.size	__hip_cuid_5841f4049d3ce313, 1

	.ident	"AMD clang version 19.0.0git (https://github.com/RadeonOpenCompute/llvm-project roc-6.4.0 25133 c7fe45cf4b819c5991fe208aaa96edf142730f1d)"
	.section	".note.GNU-stack","",@progbits
	.addrsig
	.addrsig_sym __hip_cuid_5841f4049d3ce313
	.amdgpu_metadata
---
amdhsa.kernels:
  - .args:
      - .actual_access:  read_only
        .address_space:  global
        .offset:         0
        .size:           8
        .value_kind:     global_buffer
      - .offset:         8
        .size:           8
        .value_kind:     by_value
      - .actual_access:  read_only
        .address_space:  global
        .offset:         16
        .size:           8
        .value_kind:     global_buffer
      - .actual_access:  read_only
        .address_space:  global
        .offset:         24
        .size:           8
        .value_kind:     global_buffer
      - .actual_access:  read_only
        .address_space:  global
        .offset:         32
        .size:           8
        .value_kind:     global_buffer
      - .offset:         40
        .size:           8
        .value_kind:     by_value
      - .actual_access:  read_only
        .address_space:  global
        .offset:         48
        .size:           8
        .value_kind:     global_buffer
      - .actual_access:  read_only
        .address_space:  global
        .offset:         56
        .size:           8
        .value_kind:     global_buffer
      - .offset:         64
        .size:           4
        .value_kind:     by_value
      - .actual_access:  read_only
        .address_space:  global
        .offset:         72
        .size:           8
        .value_kind:     global_buffer
      - .actual_access:  read_only
        .address_space:  global
        .offset:         80
        .size:           8
        .value_kind:     global_buffer
      - .actual_access:  read_only
        .address_space:  global
        .offset:         88
        .size:           8
        .value_kind:     global_buffer
      - .actual_access:  write_only
        .address_space:  global
        .offset:         96
        .size:           8
        .value_kind:     global_buffer
    .group_segment_fixed_size: 0
    .kernarg_segment_align: 8
    .kernarg_segment_size: 104
    .language:       OpenCL C
    .language_version:
      - 2
      - 0
    .max_flat_workgroup_size: 231
    .name:           fft_rtc_back_len1848_factors_3_11_7_4_2_wgs_231_tpt_231_halfLds_dp_op_CI_CI_unitstride_sbrr_R2C_dirReg
    .private_segment_fixed_size: 0
    .sgpr_count:     44
    .sgpr_spill_count: 0
    .symbol:         fft_rtc_back_len1848_factors_3_11_7_4_2_wgs_231_tpt_231_halfLds_dp_op_CI_CI_unitstride_sbrr_R2C_dirReg.kd
    .uniform_work_group_size: 1
    .uses_dynamic_stack: false
    .vgpr_count:     252
    .vgpr_spill_count: 0
    .wavefront_size: 64
amdhsa.target:   amdgcn-amd-amdhsa--gfx906
amdhsa.version:
  - 1
  - 2
...

	.end_amdgpu_metadata
